;; amdgpu-corpus repo=ROCm/rocFFT kind=compiled arch=gfx950 opt=O3
	.text
	.amdgcn_target "amdgcn-amd-amdhsa--gfx950"
	.amdhsa_code_object_version 6
	.protected	fft_rtc_back_len168_factors_3_4_7_2_wgs_196_tpt_14_dim3_sp_ip_CI_sbcc_twdbase8_2step_dirReg_intrinsicReadWrite ; -- Begin function fft_rtc_back_len168_factors_3_4_7_2_wgs_196_tpt_14_dim3_sp_ip_CI_sbcc_twdbase8_2step_dirReg_intrinsicReadWrite
	.globl	fft_rtc_back_len168_factors_3_4_7_2_wgs_196_tpt_14_dim3_sp_ip_CI_sbcc_twdbase8_2step_dirReg_intrinsicReadWrite
	.p2align	8
	.type	fft_rtc_back_len168_factors_3_4_7_2_wgs_196_tpt_14_dim3_sp_ip_CI_sbcc_twdbase8_2step_dirReg_intrinsicReadWrite,@function
fft_rtc_back_len168_factors_3_4_7_2_wgs_196_tpt_14_dim3_sp_ip_CI_sbcc_twdbase8_2step_dirReg_intrinsicReadWrite: ; @fft_rtc_back_len168_factors_3_4_7_2_wgs_196_tpt_14_dim3_sp_ip_CI_sbcc_twdbase8_2step_dirReg_intrinsicReadWrite
; %bb.0:
	s_load_dwordx4 s[4:7], s[0:1], 0x10
	s_mov_b32 s3, 0
	s_waitcnt lgkmcnt(0)
	s_load_dwordx2 s[10:11], s[4:5], 0x8
	s_waitcnt lgkmcnt(0)
	s_add_u32 s8, s10, -1
	s_addc_u32 s9, s11, -1
	s_add_u32 s12, 0, 0x49240800
	s_addc_u32 s13, 0, 50
	s_mul_hi_u32 s15, s12, -14
	s_add_i32 s13, s13, 0x12492460
	s_sub_i32 s15, s15, s12
	s_mul_i32 s18, s13, -14
	s_mul_i32 s14, s12, -14
	s_add_i32 s15, s15, s18
	s_mul_hi_u32 s16, s13, s14
	s_mul_i32 s17, s13, s14
	s_mul_i32 s19, s12, s15
	s_mul_hi_u32 s14, s12, s14
	s_mul_hi_u32 s18, s12, s15
	s_add_u32 s14, s14, s19
	s_addc_u32 s18, 0, s18
	s_add_u32 s14, s14, s17
	s_mul_hi_u32 s19, s13, s15
	s_addc_u32 s14, s18, s16
	s_addc_u32 s16, s19, 0
	s_mul_i32 s15, s13, s15
	s_add_u32 s14, s14, s15
	v_mov_b32_e32 v1, s14
	s_addc_u32 s15, 0, s16
	v_add_co_u32_e32 v1, vcc, s12, v1
	s_cmp_lg_u64 vcc, 0
	s_addc_u32 s12, s13, s15
	v_readfirstlane_b32 s15, v1
	s_mul_i32 s14, s8, s12
	s_mul_hi_u32 s16, s8, s15
	s_mul_hi_u32 s13, s8, s12
	s_add_u32 s14, s16, s14
	s_addc_u32 s13, 0, s13
	s_mul_hi_u32 s17, s9, s15
	s_mul_i32 s15, s9, s15
	s_add_u32 s14, s14, s15
	s_mul_hi_u32 s16, s9, s12
	s_addc_u32 s13, s13, s17
	s_addc_u32 s14, s16, 0
	s_mul_i32 s12, s9, s12
	s_add_u32 s12, s13, s12
	s_addc_u32 s13, 0, s14
	s_add_u32 s14, s12, 1
	s_addc_u32 s15, s13, 0
	s_add_u32 s16, s12, 2
	s_mul_i32 s18, s13, 14
	s_mul_hi_u32 s19, s12, 14
	s_addc_u32 s17, s13, 0
	s_add_i32 s19, s19, s18
	s_mul_i32 s18, s12, 14
	v_mov_b32_e32 v1, s18
	v_sub_co_u32_e32 v1, vcc, s8, v1
	s_cmp_lg_u64 vcc, 0
	s_subb_u32 s8, s9, s19
	v_subrev_co_u32_e32 v2, vcc, 14, v1
	s_cmp_lg_u64 vcc, 0
	s_subb_u32 s9, s8, 0
	v_readfirstlane_b32 s18, v2
	s_cmp_gt_u32 s18, 13
	s_cselect_b32 s18, -1, 0
	s_cmp_eq_u32 s9, 0
	s_cselect_b32 s9, s18, -1
	s_cmp_lg_u32 s9, 0
	s_cselect_b32 s9, s16, s14
	s_cselect_b32 s14, s17, s15
	v_readfirstlane_b32 s15, v1
	s_cmp_gt_u32 s15, 13
	s_cselect_b32 s15, -1, 0
	s_cmp_eq_u32 s8, 0
	s_cselect_b32 s8, s15, -1
	s_cmp_lg_u32 s8, 0
	s_cselect_b32 s9, s9, s12
	s_cselect_b32 s8, s14, s13
	s_add_u32 s12, s9, 1
	s_addc_u32 s13, s8, 0
	v_mov_b64_e32 v[2:3], s[12:13]
	v_cmp_lt_u64_e32 vcc, s[2:3], v[2:3]
	s_mov_b64 s[16:17], 0
	s_cbranch_vccnz .LBB0_2
; %bb.1:
	v_cvt_f32_u32_e32 v1, s12
	s_sub_i32 s8, 0, s12
	s_mov_b32 s17, s3
	v_rcp_iflag_f32_e32 v1, v1
	s_nop 0
	v_mul_f32_e32 v1, 0x4f7ffffe, v1
	v_cvt_u32_f32_e32 v1, v1
	s_nop 0
	v_readfirstlane_b32 s9, v1
	s_mul_i32 s8, s8, s9
	s_mul_hi_u32 s8, s9, s8
	s_add_i32 s9, s9, s8
	s_mul_hi_u32 s8, s2, s9
	s_mul_i32 s14, s8, s12
	s_sub_i32 s14, s2, s14
	s_add_i32 s9, s8, 1
	s_sub_i32 s15, s14, s12
	s_cmp_ge_u32 s14, s12
	s_cselect_b32 s8, s9, s8
	s_cselect_b32 s14, s15, s14
	s_add_i32 s9, s8, 1
	s_cmp_ge_u32 s14, s12
	s_cselect_b32 s16, s9, s8
.LBB0_2:
	s_load_dwordx2 s[8:9], s[4:5], 0x10
	s_load_dwordx2 s[14:15], s[6:7], 0x8
	s_mov_b64 s[18:19], s[16:17]
	s_waitcnt lgkmcnt(0)
	v_mov_b64_e32 v[2:3], s[8:9]
	v_cmp_lt_u64_e32 vcc, s[16:17], v[2:3]
	s_cbranch_vccnz .LBB0_4
; %bb.3:
	v_cvt_f32_u32_e32 v1, s8
	s_sub_i32 s4, 0, s8
	v_rcp_iflag_f32_e32 v1, v1
	s_nop 0
	v_mul_f32_e32 v1, 0x4f7ffffe, v1
	v_cvt_u32_f32_e32 v1, v1
	s_nop 0
	v_readfirstlane_b32 s5, v1
	s_mul_i32 s4, s4, s5
	s_mul_hi_u32 s4, s5, s4
	s_add_i32 s5, s5, s4
	s_mul_hi_u32 s4, s16, s5
	s_mul_i32 s4, s4, s8
	s_sub_i32 s4, s16, s4
	s_sub_i32 s5, s4, s8
	s_cmp_ge_u32 s4, s8
	s_cselect_b32 s4, s5, s4
	s_sub_i32 s5, s4, s8
	s_cmp_ge_u32 s4, s8
	s_cselect_b32 s18, s5, s4
.LBB0_4:
	s_mul_i32 s15, s8, s13
	s_mul_hi_u32 s17, s8, s12
	s_add_i32 s15, s17, s15
	s_mul_i32 s9, s9, s12
	s_load_dwordx2 s[4:5], s[0:1], 0x50
	s_add_i32 s23, s15, s9
	s_mul_i32 s22, s8, s12
	s_load_dwordx2 s[8:9], s[6:7], 0x0
	s_load_dwordx2 s[20:21], s[6:7], 0x10
	v_mov_b64_e32 v[2:3], s[22:23]
	v_cmp_lt_u64_e32 vcc, s[2:3], v[2:3]
	s_mov_b64 s[24:25], 0
	s_cbranch_vccnz .LBB0_6
; %bb.5:
	v_cvt_f32_u32_e32 v1, s22
	s_sub_i32 s3, 0, s22
	v_rcp_iflag_f32_e32 v1, v1
	s_nop 0
	v_mul_f32_e32 v1, 0x4f7ffffe, v1
	v_cvt_u32_f32_e32 v1, v1
	s_waitcnt lgkmcnt(0)
	v_readfirstlane_b32 s9, v1
	s_mul_i32 s3, s3, s9
	s_mul_hi_u32 s3, s9, s3
	s_add_i32 s9, s9, s3
	s_mul_hi_u32 s3, s2, s9
	s_mul_i32 s15, s3, s22
	s_sub_i32 s15, s2, s15
	s_add_i32 s9, s3, 1
	s_sub_i32 s17, s15, s22
	s_cmp_ge_u32 s15, s22
	s_cselect_b32 s3, s9, s3
	s_cselect_b32 s15, s17, s15
	s_add_i32 s9, s3, 1
	s_cmp_ge_u32 s15, s22
	s_cselect_b32 s24, s9, s3
.LBB0_6:
	s_mul_i32 s3, s16, s13
	s_waitcnt lgkmcnt(0)
	s_mul_hi_u32 s9, s16, s12
	s_add_i32 s9, s9, s3
	s_mul_i32 s3, s16, s12
	s_sub_u32 s12, s2, s3
	s_subb_u32 s2, 0, s9
	s_mul_i32 s13, s2, 14
	s_mul_hi_u32 s2, s12, 14
	s_add_i32 s15, s2, s13
	s_load_dwordx2 s[2:3], s[6:7], 0x18
	v_mul_u32_u24_e32 v1, 0x124a, v0
	s_mul_i32 s6, s12, 14
	v_lshrrev_b32_e32 v40, 16, v1
	s_waitcnt lgkmcnt(0)
	s_mul_i32 s3, s14, s6
	s_mul_i32 s7, s20, s18
	v_mul_lo_u16_e32 v1, 14, v40
	s_add_u32 s3, s7, s3
	s_mul_i32 s2, s2, s24
	v_sub_u16_e32 v6, v0, v1
	v_mov_b32_e32 v7, 0
	s_add_u32 s9, s2, s3
	v_mad_u64_u32 v[4:5], s[2:3], s12, 14, v[6:7]
	s_add_u32 s2, s6, 14
	s_addc_u32 s3, s15, 0
	v_mov_b64_e32 v[2:3], s[10:11]
	v_add_u32_e32 v5, s13, v5
	v_cmp_le_u64_e32 vcc, s[2:3], v[2:3]
	v_mad_u64_u32 v[2:3], s[2:3], s14, v6, 0
	v_cmp_gt_u64_e64 s[2:3], s[10:11], v[4:5]
	s_or_b64 s[6:7], vcc, s[2:3]
	v_mov_b32_e32 v8, 0
	v_mov_b32_e32 v9, 0
	s_and_saveexec_b64 s[2:3], s[6:7]
	s_cbranch_execz .LBB0_8
; %bb.7:
	v_mul_lo_u32 v1, s8, v40
	v_add3_u32 v8, s9, v2, v1
	v_mov_b32_e32 v9, v7
	v_lshl_add_u64 v[8:9], v[8:9], 3, s[4:5]
	global_load_dwordx2 v[8:9], v[8:9], off
.LBB0_8:
	s_or_b64 exec, exec, s[2:3]
	v_add_u32_e32 v1, 56, v40
	v_mov_b32_e32 v11, 0
	s_and_saveexec_b64 s[2:3], s[6:7]
	s_cbranch_execz .LBB0_10
; %bb.9:
	v_mul_lo_u32 v3, s8, v1
	v_add3_u32 v10, s9, v2, v3
	v_mov_b32_e32 v11, 0
	v_lshl_add_u64 v[10:11], v[10:11], 3, s[4:5]
	global_load_dwordx2 v[10:11], v[10:11], off
	s_waitcnt vmcnt(0)
	v_mov_b32_e32 v7, v10
.LBB0_10:
	s_or_b64 exec, exec, s[2:3]
	v_mov_b32_e32 v12, 0
	v_mov_b32_e32 v14, 0
	v_mov_b32_e32 v15, 0
	s_and_saveexec_b64 s[2:3], s[6:7]
	s_cbranch_execz .LBB0_12
; %bb.11:
	v_add_u32_e32 v3, 0x70, v40
	v_mul_lo_u32 v3, s8, v3
	v_add3_u32 v14, s9, v2, v3
	v_mov_b32_e32 v15, 0
	v_lshl_add_u64 v[14:15], v[14:15], 3, s[4:5]
	global_load_dwordx2 v[14:15], v[14:15], off
.LBB0_12:
	s_or_b64 exec, exec, s[2:3]
	v_add_u32_e32 v5, 14, v40
	v_mov_b32_e32 v13, 0
	s_and_saveexec_b64 s[2:3], s[6:7]
	s_cbranch_execz .LBB0_14
; %bb.13:
	v_mul_lo_u32 v3, s8, v5
	v_add3_u32 v12, s9, v2, v3
	v_mov_b32_e32 v13, 0
	v_lshl_add_u64 v[12:13], v[12:13], 3, s[4:5]
	global_load_dwordx2 v[12:13], v[12:13], off
.LBB0_14:
	s_or_b64 exec, exec, s[2:3]
	v_add_u32_e32 v3, 0x46, v40
	v_mov_b32_e32 v18, 0
	v_mov_b32_e32 v16, 0
	;; [unrolled: 1-line block ×3, first 2 shown]
	s_and_saveexec_b64 s[2:3], s[6:7]
	s_cbranch_execz .LBB0_16
; %bb.15:
	v_mul_lo_u32 v10, s8, v3
	v_add3_u32 v16, s9, v2, v10
	v_mov_b32_e32 v17, 0
	v_lshl_add_u64 v[16:17], v[16:17], 3, s[4:5]
	global_load_dwordx2 v[16:17], v[16:17], off
.LBB0_16:
	s_or_b64 exec, exec, s[2:3]
	v_mov_b32_e32 v19, 0
	s_and_saveexec_b64 s[2:3], s[6:7]
	s_cbranch_execz .LBB0_18
; %bb.17:
	v_add_u32_e32 v10, 0x7e, v40
	v_mul_lo_u32 v10, s8, v10
	v_add3_u32 v18, s9, v2, v10
	v_mov_b32_e32 v19, 0
	v_lshl_add_u64 v[18:19], v[18:19], 3, s[4:5]
	global_load_dwordx2 v[18:19], v[18:19], off
.LBB0_18:
	s_or_b64 exec, exec, s[2:3]
	v_add_u32_e32 v41, 28, v40
	v_mov_b32_e32 v20, 0
	v_mov_b32_e32 v22, 0
	;; [unrolled: 1-line block ×3, first 2 shown]
	s_and_saveexec_b64 s[2:3], s[6:7]
	s_cbranch_execz .LBB0_20
; %bb.19:
	v_mul_lo_u32 v10, s8, v41
	v_add3_u32 v22, s9, v2, v10
	v_mov_b32_e32 v23, 0
	v_lshl_add_u64 v[22:23], v[22:23], 3, s[4:5]
	global_load_dwordx2 v[22:23], v[22:23], off
.LBB0_20:
	s_or_b64 exec, exec, s[2:3]
	v_mov_b32_e32 v21, 0
	s_and_saveexec_b64 s[2:3], s[6:7]
	s_cbranch_execz .LBB0_22
; %bb.21:
	v_add_u32_e32 v10, 0x54, v40
	v_mul_lo_u32 v10, s8, v10
	v_add3_u32 v20, s9, v2, v10
	v_mov_b32_e32 v21, 0
	v_lshl_add_u64 v[20:21], v[20:21], 3, s[4:5]
	global_load_dwordx2 v[20:21], v[20:21], off
.LBB0_22:
	s_or_b64 exec, exec, s[2:3]
	v_mov_b32_e32 v24, 0
	v_mov_b32_e32 v26, 0
	;; [unrolled: 1-line block ×3, first 2 shown]
	s_and_saveexec_b64 s[2:3], s[6:7]
	s_cbranch_execz .LBB0_24
; %bb.23:
	v_add_u32_e32 v10, 0x8c, v40
	v_mul_lo_u32 v10, s8, v10
	v_add3_u32 v26, s9, v2, v10
	v_mov_b32_e32 v27, 0
	v_lshl_add_u64 v[26:27], v[26:27], 3, s[4:5]
	global_load_dwordx2 v[26:27], v[26:27], off
.LBB0_24:
	s_or_b64 exec, exec, s[2:3]
	v_add_u32_e32 v42, 42, v40
	v_mov_b32_e32 v25, 0
	s_and_saveexec_b64 s[2:3], s[6:7]
	s_cbranch_execz .LBB0_26
; %bb.25:
	v_mul_lo_u32 v10, s8, v42
	v_add3_u32 v24, s9, v2, v10
	v_mov_b32_e32 v25, 0
	v_lshl_add_u64 v[24:25], v[24:25], 3, s[4:5]
	global_load_dwordx2 v[24:25], v[24:25], off
.LBB0_26:
	s_or_b64 exec, exec, s[2:3]
	s_load_dwordx2 s[2:3], s[0:1], 0x0
	v_mov_b32_e32 v28, 0
	v_mov_b32_e32 v30, 0
	;; [unrolled: 1-line block ×3, first 2 shown]
	s_and_saveexec_b64 s[10:11], s[6:7]
	s_cbranch_execz .LBB0_28
; %bb.27:
	v_add_u32_e32 v10, 0x62, v40
	v_mul_lo_u32 v10, s8, v10
	v_add3_u32 v30, s9, v2, v10
	v_mov_b32_e32 v31, 0
	v_lshl_add_u64 v[30:31], v[30:31], 3, s[4:5]
	global_load_dwordx2 v[30:31], v[30:31], off
.LBB0_28:
	s_or_b64 exec, exec, s[10:11]
	v_mov_b32_e32 v29, 0
	s_and_saveexec_b64 s[10:11], s[6:7]
	s_cbranch_execz .LBB0_30
; %bb.29:
	v_add_u32_e32 v10, 0x9a, v40
	v_mul_lo_u32 v10, s8, v10
	v_add3_u32 v28, s9, v2, v10
	v_mov_b32_e32 v29, 0
	v_lshl_add_u64 v[28:29], v[28:29], 3, s[4:5]
	global_load_dwordx2 v[28:29], v[28:29], off
.LBB0_30:
	s_or_b64 exec, exec, s[10:11]
	v_mov_b32_e32 v10, v7
	s_waitcnt vmcnt(0)
	v_pk_add_f32 v[32:33], v[8:9], v[10:11]
	v_mul_u32_u24_e32 v7, 0x150, v40
	v_lshlrev_b32_e32 v38, 3, v6
	v_add3_u32 v39, 0, v7, v38
	v_pk_add_f32 v[6:7], v[32:33], v[14:15]
	v_pk_add_f32 v[32:33], v[10:11], v[14:15]
	v_pk_add_f32 v[10:11], v[10:11], v[14:15] neg_lo:[0,1] neg_hi:[0,1]
	s_mov_b32 s10, 0x3f5db3d7
	v_pk_fma_f32 v[8:9], v[32:33], 0.5, v[8:9] op_sel_hi:[1,0,1] neg_lo:[1,0,0] neg_hi:[1,0,0]
	v_pk_mul_f32 v[10:11], v[10:11], s[10:11] op_sel_hi:[1,0]
	v_pk_add_f32 v[34:35], v[12:13], v[16:17]
	v_pk_add_f32 v[14:15], v[8:9], v[10:11] op_sel:[0,1] op_sel_hi:[1,0] neg_lo:[0,1] neg_hi:[0,1]
	v_pk_add_f32 v[8:9], v[8:9], v[10:11] op_sel:[0,1] op_sel_hi:[1,0]
	v_mov_b32_e32 v10, v14
	v_mov_b32_e32 v11, v9
	;; [unrolled: 1-line block ×3, first 2 shown]
	ds_write2_b64 v39, v[6:7], v[10:11] offset1:14
	ds_write_b64 v39, v[8:9] offset:224
	v_pk_add_f32 v[8:9], v[16:17], v[18:19]
	v_pk_add_f32 v[10:11], v[16:17], v[18:19] neg_lo:[0,1] neg_hi:[0,1]
	v_pk_fma_f32 v[8:9], v[8:9], 0.5, v[12:13] op_sel_hi:[1,0,1] neg_lo:[1,0,0] neg_hi:[1,0,0]
	v_pk_mul_f32 v[10:11], v[10:11], s[10:11] op_sel_hi:[1,0]
	v_pk_add_f32 v[6:7], v[34:35], v[18:19]
	v_pk_add_f32 v[12:13], v[8:9], v[10:11] op_sel:[0,1] op_sel_hi:[1,0] neg_lo:[0,1] neg_hi:[0,1]
	v_pk_add_f32 v[8:9], v[8:9], v[10:11] op_sel:[0,1] op_sel_hi:[1,0]
	v_mov_b32_e32 v10, v12
	v_mov_b32_e32 v11, v9
	v_add_u32_e32 v9, 0x1000, v39
	ds_write2_b64 v9, v[6:7], v[10:11] offset0:76 offset1:90
	v_mov_b32_e32 v9, v13
	ds_write_b64 v39, v[8:9] offset:4928
	v_pk_add_f32 v[8:9], v[20:21], v[26:27]
	v_pk_add_f32 v[10:11], v[20:21], v[26:27] neg_lo:[0,1] neg_hi:[0,1]
	v_pk_fma_f32 v[8:9], v[8:9], 0.5, v[22:23] op_sel_hi:[1,0,1] neg_lo:[1,0,0] neg_hi:[1,0,0]
	v_pk_mul_f32 v[10:11], v[10:11], s[10:11] op_sel_hi:[1,0]
	v_pk_add_f32 v[36:37], v[22:23], v[20:21]
	v_pk_add_f32 v[12:13], v[8:9], v[10:11] op_sel:[0,1] op_sel_hi:[1,0] neg_lo:[0,1] neg_hi:[0,1]
	v_pk_add_f32 v[8:9], v[8:9], v[10:11] op_sel:[0,1] op_sel_hi:[1,0]
	v_pk_add_f32 v[6:7], v[36:37], v[26:27]
	v_mov_b32_e32 v10, v12
	v_mov_b32_e32 v11, v9
	v_add_u32_e32 v9, 0x2000, v39
	ds_write2_b64 v9, v[6:7], v[10:11] offset0:152 offset1:166
	v_mov_b32_e32 v9, v13
	ds_write_b64 v39, v[8:9] offset:9632
	v_pk_add_f32 v[8:9], v[30:31], v[28:29]
	v_pk_add_f32 v[10:11], v[30:31], v[28:29] neg_lo:[0,1] neg_hi:[0,1]
	v_pk_fma_f32 v[8:9], v[8:9], 0.5, v[24:25] op_sel_hi:[1,0,1] neg_lo:[1,0,0] neg_hi:[1,0,0]
	v_pk_mul_f32 v[10:11], v[10:11], s[10:11] op_sel_hi:[1,0]
	v_pk_add_f32 v[44:45], v[24:25], v[30:31]
	v_pk_add_f32 v[12:13], v[8:9], v[10:11] op_sel:[0,1] op_sel_hi:[1,0] neg_lo:[0,1] neg_hi:[0,1]
	v_pk_add_f32 v[8:9], v[8:9], v[10:11] op_sel:[0,1] op_sel_hi:[1,0]
	v_pk_add_f32 v[6:7], v[44:45], v[28:29]
	v_mov_b32_e32 v10, v12
	v_mov_b32_e32 v11, v9
	v_add_u32_e32 v9, 0x3000, v39
	v_mov_b32_e32 v16, 3
	v_mul_lo_u16_e32 v47, 0x56, v5
	ds_write2_b64 v9, v[6:7], v[10:11] offset0:228 offset1:242
	v_mul_lo_u16_sdwa v6, v47, v16 dst_sel:DWORD dst_unused:UNUSED_PAD src0_sel:BYTE_1 src1_sel:DWORD
	v_sub_u16_e32 v58, v5, v6
	v_mul_u32_u24_sdwa v6, v58, v16 dst_sel:DWORD dst_unused:UNUSED_PAD src0_sel:BYTE_0 src1_sel:DWORD
	v_mov_b32_e32 v9, v13
	v_lshlrev_b32_e32 v10, 3, v6
	ds_write_b64 v39, v[8:9] offset:14336
	s_waitcnt lgkmcnt(0)
	s_barrier
	global_load_dwordx4 v[6:9], v10, s[2:3]
	global_load_dwordx2 v[14:15], v10, s[2:3] offset:16
	v_mul_lo_u16_e32 v59, 0x56, v41
	v_mul_lo_u16_sdwa v10, v59, v16 dst_sel:DWORD dst_unused:UNUSED_PAD src0_sel:BYTE_1 src1_sel:DWORD
	v_sub_u16_e32 v60, v41, v10
	v_mul_u32_u24_sdwa v10, v60, v16 dst_sel:DWORD dst_unused:UNUSED_PAD src0_sel:BYTE_0 src1_sel:DWORD
	v_lshlrev_b32_e32 v17, 3, v10
	global_load_dwordx4 v[10:13], v17, s[2:3]
	global_load_dwordx2 v[48:49], v17, s[2:3] offset:16
	v_mul_lo_u16_e32 v61, 0x56, v40
	v_mul_lo_u16_sdwa v17, v61, v16 dst_sel:DWORD dst_unused:UNUSED_PAD src0_sel:BYTE_1 src1_sel:DWORD
	v_sub_u16_e32 v62, v40, v17
	v_mul_u32_u24_sdwa v16, v62, v16 dst_sel:DWORD dst_unused:UNUSED_PAD src0_sel:BYTE_0 src1_sel:DWORD
	v_lshlrev_b32_e32 v20, 3, v16
	global_load_dwordx4 v[16:19], v20, s[2:3]
	global_load_dwordx2 v[50:51], v20, s[2:3] offset:16
	s_movk_i32 s10, 0xff20
	v_add_u32_e32 v21, 0x3720, v39
	v_mad_i32_i24 v43, v40, s10, v39
	v_mad_i32_i24 v46, v42, s10, v21
	v_add_u32_e32 v21, 0x2400, v43
	ds_read2_b64 v[22:25], v21 offset0:24 offset1:220
	v_add_u32_e32 v21, 0x3000, v43
	ds_read2_b64 v[26:29], v21 offset0:32 offset1:228
	;; [unrolled: 2-line block ×3, first 2 shown]
	v_add_u32_e32 v20, 0x1260, v39
	v_mad_i32_i24 v45, v5, s10, v20
	v_add_u32_e32 v20, 0x3c00, v43
	ds_read2_b64 v[34:37], v20 offset0:40 offset1:236
	s_waitcnt lgkmcnt(1)
	v_mov_b32_e32 v20, v31
	v_add_u32_e32 v44, 0x24c0, v39
	v_mad_i32_i24 v44, v41, s10, v44
	s_movk_i32 s10, 0x8c
	v_cmp_gt_u32_e32 vcc, s10, v0
	s_waitcnt vmcnt(5)
	v_pk_mul_f32 v[52:53], v[6:7], v[30:31] op_sel_hi:[1,0]
	s_nop 0
	v_pk_fma_f32 v[54:55], v[6:7], v[20:21], v[52:53] op_sel:[0,0,1] op_sel_hi:[1,1,0] neg_lo:[0,0,1] neg_hi:[0,0,1]
	v_pk_fma_f32 v[6:7], v[6:7], v[30:31], v[52:53] op_sel:[0,1,1] op_sel_hi:[1,1,0]
	s_nop 0
	v_mov_b32_e32 v6, v9
	v_mov_b32_e32 v55, v7
	v_pk_mul_f32 v[6:7], v[24:25], v[6:7] op_sel_hi:[1,0]
	s_nop 0
	v_pk_fma_f32 v[30:31], v[24:25], v[8:9], v[6:7] op_sel:[0,0,1] op_sel_hi:[1,1,0]
	v_pk_fma_f32 v[6:7], v[24:25], v[8:9], v[6:7] op_sel:[0,0,1] op_sel_hi:[1,0,0] neg_lo:[0,0,1] neg_hi:[0,0,1]
	s_waitcnt vmcnt(4) lgkmcnt(0)
	v_pk_mul_f32 v[8:9], v[34:35], v[14:15] op_sel_hi:[0,1]
	v_mov_b32_e32 v6, v35
	v_mov_b32_e32 v31, v7
	v_pk_fma_f32 v[6:7], v[6:7], v[14:15], v[8:9] op_sel:[0,0,1] op_sel_hi:[1,1,0] neg_lo:[0,0,1] neg_hi:[0,0,1]
	v_pk_fma_f32 v[8:9], v[34:35], v[14:15], v[8:9] op_sel:[1,0,1] op_sel_hi:[1,1,0]
	ds_read_b64 v[24:25], v45
	v_mov_b32_e32 v7, v9
	v_pk_add_f32 v[52:53], v[54:55], v[6:7] neg_lo:[0,1] neg_hi:[0,1]
	s_waitcnt vmcnt(3)
	v_pk_mul_f32 v[6:7], v[32:33], v[10:11] op_sel_hi:[1,0]
	ds_read_b64 v[8:9], v44
	ds_read_b64 v[34:35], v46
	v_pk_fma_f32 v[56:57], v[32:33], v[10:11], v[6:7] op_sel:[0,1,1] op_sel_hi:[1,1,0]
	v_pk_fma_f32 v[10:11], v[32:33], v[10:11], v[6:7] op_sel:[0,1,1] op_sel_hi:[1,1,0] neg_lo:[1,0,0] neg_hi:[1,0,0]
	v_pk_mul_f32 v[6:7], v[26:27], v[12:13] op_sel:[1,0]
	v_mov_b32_e32 v11, v57
	v_pk_fma_f32 v[32:33], v[26:27], v[12:13], v[6:7] op_sel:[0,0,1] op_sel_hi:[0,1,0] neg_lo:[1,0,0] neg_hi:[1,0,0]
	v_pk_fma_f32 v[12:13], v[26:27], v[12:13], v[6:7] op_sel:[0,0,1] op_sel_hi:[0,1,0]
	s_waitcnt vmcnt(2)
	v_pk_mul_f32 v[26:27], v[36:37], v[48:49] op_sel_hi:[1,0]
	v_mov_b32_e32 v13, v33
	v_pk_fma_f32 v[32:33], v[36:37], v[48:49], v[26:27] op_sel:[0,1,1] op_sel_hi:[1,1,0]
	v_pk_fma_f32 v[26:27], v[36:37], v[48:49], v[26:27] op_sel:[0,1,1] op_sel_hi:[1,1,0] neg_lo:[1,0,0] neg_hi:[1,0,0]
	s_waitcnt lgkmcnt(2)
	v_pk_add_f32 v[30:31], v[24:25], v[30:31] neg_lo:[0,1] neg_hi:[0,1]
	v_mov_b32_e32 v27, v33
	s_waitcnt lgkmcnt(1)
	v_pk_add_f32 v[32:33], v[8:9], v[12:13] neg_lo:[0,1] neg_hi:[0,1]
	v_pk_add_f32 v[26:27], v[10:11], v[26:27] neg_lo:[0,1] neg_hi:[0,1]
	v_pk_fma_f32 v[36:37], v[8:9], 2.0, v[32:33] op_sel_hi:[1,0,1] neg_lo:[0,0,1] neg_hi:[0,0,1]
	v_pk_fma_f32 v[8:9], v[10:11], 2.0, v[26:27] op_sel_hi:[1,0,1] neg_lo:[0,0,1] neg_hi:[0,0,1]
	v_pk_add_f32 v[6:7], v[30:31], v[52:53]
	v_pk_add_f32 v[14:15], v[30:31], v[52:53] neg_lo:[0,1] neg_hi:[0,1]
	v_pk_add_f32 v[10:11], v[36:37], v[8:9] op_sel:[0,1] op_sel_hi:[1,0] neg_lo:[0,1] neg_hi:[0,1]
	v_pk_add_f32 v[12:13], v[32:33], v[26:27] neg_lo:[0,1] neg_hi:[0,1]
	v_pk_add_f32 v[8:9], v[32:33], v[26:27]
	v_pk_fma_f32 v[26:27], v[54:55], 2.0, v[52:53] op_sel_hi:[1,0,1] neg_lo:[0,0,1] neg_hi:[0,0,1]
	s_waitcnt vmcnt(1) lgkmcnt(0)
	v_pk_mul_f32 v[52:53], v[16:17], v[34:35] op_sel:[0,1]
	ds_read_b64 v[48:49], v43
	v_pk_fma_f32 v[54:55], v[16:17], v[34:35], v[52:53] op_sel:[0,0,1] op_sel_hi:[1,1,0]
	v_pk_fma_f32 v[16:17], v[16:17], v[34:35], v[52:53] op_sel:[0,0,1] op_sel_hi:[1,0,0] neg_lo:[1,0,0] neg_hi:[1,0,0]
	v_mov_b32_e32 v12, 12
	v_mov_b32_e32 v55, v17
	v_pk_mul_f32 v[16:17], v[18:19], v[22:23] op_sel:[0,1]
	v_mul_u32_u24_sdwa v14, v61, v12 dst_sel:DWORD dst_unused:UNUSED_PAD src0_sel:BYTE_1 src1_sel:DWORD
	v_pk_fma_f32 v[34:35], v[18:19], v[22:23], v[16:17] op_sel:[0,0,1] op_sel_hi:[1,1,0]
	v_pk_fma_f32 v[16:17], v[18:19], v[22:23], v[16:17] op_sel:[0,0,1] op_sel_hi:[1,0,0] neg_lo:[1,0,0] neg_hi:[1,0,0]
	v_or_b32_sdwa v14, v14, v62 dst_sel:DWORD dst_unused:UNUSED_PAD src0_sel:DWORD src1_sel:BYTE_0
	v_mov_b32_e32 v35, v17
	s_waitcnt vmcnt(0)
	v_pk_mul_f32 v[16:17], v[50:51], v[28:29] op_sel:[0,1]
	v_mul_u32_u24_sdwa v20, v47, v12 dst_sel:DWORD dst_unused:UNUSED_PAD src0_sel:BYTE_1 src1_sel:DWORD
	v_pk_fma_f32 v[18:19], v[50:51], v[28:29], v[16:17] op_sel:[0,0,1] op_sel_hi:[1,1,0]
	v_pk_fma_f32 v[16:17], v[50:51], v[28:29], v[16:17] op_sel:[0,0,1] op_sel_hi:[1,0,0] neg_lo:[1,0,0] neg_hi:[1,0,0]
	v_mul_u32_u24_e32 v14, 0x70, v14
	v_mov_b32_e32 v19, v17
	s_waitcnt lgkmcnt(0)
	v_pk_add_f32 v[16:17], v[48:49], v[34:35] neg_lo:[0,1] neg_hi:[0,1]
	v_pk_add_f32 v[18:19], v[54:55], v[18:19] neg_lo:[0,1] neg_hi:[0,1]
	v_pk_fma_f32 v[22:23], v[48:49], 2.0, v[16:17] op_sel_hi:[1,0,1] neg_lo:[0,0,1] neg_hi:[0,0,1]
	v_pk_fma_f32 v[28:29], v[54:55], 2.0, v[18:19] op_sel_hi:[1,0,1] neg_lo:[0,0,1] neg_hi:[0,0,1]
	v_pk_add_f32 v[34:35], v[16:17], v[18:19] op_sel:[0,1] op_sel_hi:[1,0]
	v_pk_add_f32 v[18:19], v[16:17], v[18:19] op_sel:[0,1] op_sel_hi:[1,0] neg_lo:[0,1] neg_hi:[0,1]
	v_or_b32_sdwa v20, v20, v58 dst_sel:DWORD dst_unused:UNUSED_PAD src0_sel:DWORD src1_sel:BYTE_0
	v_pk_fma_f32 v[24:25], v[24:25], 2.0, v[30:31] op_sel_hi:[1,0,1] neg_lo:[0,0,1] neg_hi:[0,0,1]
	v_pk_add_f32 v[28:29], v[22:23], v[28:29] neg_lo:[0,1] neg_hi:[0,1]
	v_mov_b32_e32 v35, v19
	v_mov_b32_e32 v7, v15
	v_add3_u32 v14, 0, v14, v38
	v_mul_u32_u24_e32 v20, 0x70, v20
	v_pk_add_f32 v[26:27], v[24:25], v[26:27] op_sel:[0,1] op_sel_hi:[1,0] neg_lo:[0,1] neg_hi:[0,1]
	v_pk_fma_f32 v[22:23], v[22:23], 2.0, v[28:29] op_sel_hi:[1,0,1] neg_lo:[0,0,1] neg_hi:[0,0,1]
	v_pk_fma_f32 v[16:17], v[16:17], 2.0, v[34:35] op_sel_hi:[1,0,1] neg_lo:[0,0,1] neg_hi:[0,0,1]
	v_add3_u32 v20, 0, v20, v38
	v_pk_fma_f32 v[24:25], v[24:25], 2.0, v[26:27] op_sel_hi:[1,0,1] neg_lo:[0,0,1] neg_hi:[0,0,1]
	s_barrier
	ds_write2_b64 v14, v[22:23], v[16:17] offset1:42
	ds_write2_b64 v14, v[28:29], v[34:35] offset0:84 offset1:126
	v_pk_fma_f32 v[16:17], v[30:31], 2.0, v[6:7] op_sel_hi:[1,0,1] neg_lo:[0,0,1] neg_hi:[0,0,1]
	ds_write2_b64 v20, v[24:25], v[16:17] offset1:42
	ds_write2_b64 v20, v[26:27], v[6:7] offset0:84 offset1:126
	v_mul_u32_u24_sdwa v7, v59, v12 dst_sel:DWORD dst_unused:UNUSED_PAD src0_sel:BYTE_1 src1_sel:DWORD
	v_or_b32_sdwa v7, v7, v60 dst_sel:DWORD dst_unused:UNUSED_PAD src0_sel:DWORD src1_sel:BYTE_0
	v_mov_b32_e32 v9, v13
	v_mul_u32_u24_e32 v7, 0x70, v7
	v_add3_u32 v7, 0, v7, v38
	v_pk_fma_f32 v[18:19], v[36:37], 2.0, v[10:11] op_sel_hi:[1,0,1] neg_lo:[0,0,1] neg_hi:[0,0,1]
	v_pk_fma_f32 v[16:17], v[32:33], 2.0, v[8:9] op_sel_hi:[1,0,1] neg_lo:[0,0,1] neg_hi:[0,0,1]
	ds_write2_b64 v7, v[18:19], v[16:17] offset1:42
	ds_write2_b64 v7, v[10:11], v[8:9] offset0:84 offset1:126
	s_waitcnt lgkmcnt(0)
	s_barrier
	ds_read_b64 v[24:25], v43
	ds_read_b64 v[30:31], v43 offset:2688
	ds_read_b64 v[26:27], v43 offset:5376
	;; [unrolled: 1-line block ×6, first 2 shown]
                                        ; implicit-def: $vgpr22
                                        ; implicit-def: $vgpr20
	s_and_saveexec_b64 s[10:11], vcc
	s_cbranch_execz .LBB0_32
; %bb.31:
	ds_read_b64 v[6:7], v45
	ds_read2_b32 v[16:17], v21 offset0:200 offset1:201
	ds_read_b64 v[18:19], v43 offset:4256
	ds_read_b64 v[10:11], v43 offset:9632
	;; [unrolled: 1-line block ×5, first 2 shown]
	s_waitcnt lgkmcnt(6)
	v_mov_b32_e32 v15, v7
	s_waitcnt lgkmcnt(2)
	v_mov_b32_e32 v13, v9
.LBB0_32:
	s_or_b64 exec, exec, s[10:11]
	v_mul_lo_u16_e32 v7, 22, v40
	v_lshrrev_b16_e32 v7, 8, v7
	v_mul_lo_u16_e32 v9, 12, v7
	v_sub_u16_e32 v9, v40, v9
	v_and_b32_e32 v9, 0xff, v9
	v_mul_u32_u24_e32 v12, 6, v9
	v_lshlrev_b32_e32 v12, 3, v12
	global_load_dwordx4 v[48:51], v12, s[2:3] offset:88
	global_load_dwordx4 v[52:55], v12, s[2:3] offset:72
	;; [unrolled: 1-line block ×3, first 2 shown]
	s_waitcnt lgkmcnt(3)
	v_mov_b32_e32 v60, v37
	v_mov_b32_e32 v61, v36
	s_waitcnt lgkmcnt(2)
	v_mov_b32_e32 v62, v35
	v_mov_b32_e32 v63, v34
	v_mov_b32_e32 v12, v31
	v_mov_b32_e32 v14, v27
	s_waitcnt lgkmcnt(1)
	v_mov_b32_e32 v64, v33
	s_waitcnt lgkmcnt(0)
	v_mov_b32_e32 v66, v29
	s_mov_b32 s12, 0x3f08b237
	s_mov_b32 s20, 0x3d64c772
	;; [unrolled: 1-line block ×9, first 2 shown]
	s_movk_i32 s11, 0x54
	s_mov_b32 s10, 0xbee1c552
	v_mad_u32_u24 v7, v7, s11, v9
	v_mul_u32_u24_e32 v7, 0x70, v7
	v_add3_u32 v7, 0, v7, v38
	s_barrier
	s_mov_b32 s16, 0xbf5ff5aa
	s_mov_b32 s18, 0x3f3bfb3b
	v_add_u32_e32 v9, 0x800, v7
	s_waitcnt vmcnt(2)
	v_pk_mul_f32 v[70:71], v[48:49], v[60:61]
	v_mov_b32_e32 v68, v49
	v_mov_b32_e32 v70, v51
	v_pk_mul_f32 v[72:73], v[50:51], v[62:63]
	s_waitcnt vmcnt(1)
	v_pk_mul_f32 v[74:75], v[52:53], v[30:31] op_sel_hi:[1,0]
	v_pk_mul_f32 v[76:77], v[54:55], v[26:27] op_sel_hi:[1,0]
	s_waitcnt vmcnt(0)
	v_pk_mul_f32 v[78:79], v[56:57], v[32:33] op_sel_hi:[1,0]
	v_pk_mul_f32 v[80:81], v[58:59], v[28:29] op_sel_hi:[1,0]
	;; [unrolled: 1-line block ×4, first 2 shown]
	v_pk_mul_f32 v[68:69], v[68:69], v[60:61]
	v_mov_b32_e32 v72, v71
	v_pk_mul_f32 v[70:71], v[70:71], v[62:63]
	v_pk_fma_f32 v[84:85], v[52:53], v[12:13], v[74:75] op_sel:[0,0,1] op_sel_hi:[1,1,0] neg_lo:[0,0,1] neg_hi:[0,0,1]
	v_pk_fma_f32 v[30:31], v[52:53], v[30:31], v[74:75] op_sel:[0,1,1] op_sel_hi:[1,1,0]
	v_pk_fma_f32 v[52:53], v[54:55], v[14:15], v[76:77] op_sel:[0,0,1] op_sel_hi:[1,1,0] neg_lo:[0,0,1] neg_hi:[0,0,1]
	v_pk_fma_f32 v[26:27], v[54:55], v[26:27], v[76:77] op_sel:[0,1,1] op_sel_hi:[1,1,0]
	;; [unrolled: 2-line block ×4, first 2 shown]
	v_mov_b32_e32 v82, v73
	v_mov_b32_e32 v85, v31
	;; [unrolled: 1-line block ×9, first 2 shown]
	v_pk_fma_f32 v[48:49], v[48:49], v[60:61], v[72:73] neg_lo:[0,0,1] neg_hi:[0,0,1]
	v_pk_fma_f32 v[50:51], v[50:51], v[62:63], v[82:83] neg_lo:[0,0,1] neg_hi:[0,0,1]
	v_pk_add_f32 v[26:27], v[84:85], v[56:57]
	v_pk_add_f32 v[30:31], v[52:53], v[54:55]
	;; [unrolled: 1-line block ×4, first 2 shown]
	v_pk_add_f32 v[32:33], v[52:53], v[54:55] neg_lo:[0,1] neg_hi:[0,1]
	v_mov_b32_e32 v53, v48
	v_mov_b32_e32 v55, v50
	;; [unrolled: 1-line block ×6, first 2 shown]
	v_pk_add_f32 v[28:29], v[84:85], v[56:57] neg_lo:[0,1] neg_hi:[0,1]
	v_pk_add_f32 v[64:65], v[36:37], v[34:35]
	v_pk_add_f32 v[48:49], v[50:51], v[48:49] neg_lo:[0,1] neg_hi:[0,1]
	v_pk_add_f32 v[50:51], v[52:53], v[54:55]
	v_mov_b32_e32 v57, v29
	v_mov_b32_e32 v58, v32
	v_mov_b32_e32 v66, v31
	v_mov_b32_e32 v34, v64
	v_mov_b32_e32 v56, v48
	v_mov_b32_e32 v59, v49
	v_mov_b32_e32 v67, v51
	v_mov_b32_e32 v60, v28
	v_mov_b32_e32 v63, v33
	v_mov_b32_e32 v68, v27
	v_mov_b32_e32 v61, v49
	v_mov_b32_e32 v62, v48
	v_pk_add_f32 v[52:53], v[56:57], v[58:59] neg_lo:[0,1] neg_hi:[0,1]
	v_pk_add_f32 v[56:57], v[34:35], v[66:67] neg_lo:[0,1] neg_hi:[0,1]
	v_mov_b32_e32 v69, v51
	v_mov_b32_e32 v36, v64
	v_pk_add_f32 v[50:51], v[50:51], v[64:65]
	v_pk_add_f32 v[48:49], v[48:49], v[32:33]
	v_pk_add_f32 v[54:55], v[60:61], v[62:63] neg_lo:[0,1] neg_hi:[0,1]
	v_pk_mul_f32 v[52:53], v[52:53], s[12:13]
	v_pk_add_f32 v[60:61], v[68:69], v[36:37] neg_lo:[0,1] neg_hi:[0,1]
	v_pk_add_f32 v[24:25], v[50:51], v[24:25]
	v_pk_mul_f32 v[56:57], v[56:57], s[20:21]
	v_pk_add_f32 v[48:49], v[48:49], v[28:29]
	v_pk_mul_f32 v[58:59], v[54:55], s[14:15]
	v_pk_mul_f32 v[62:63], v[60:61], s[24:25]
	v_pk_fma_f32 v[50:51], v[50:51], s[22:23], v[24:25] op_sel_hi:[1,0,1]
	v_pk_fma_f32 v[60:61], v[60:61], s[24:25], v[56:57]
	v_pk_fma_f32 v[54:55], v[54:55], s[14:15], v[52:53]
	v_pk_add_f32 v[60:61], v[60:61], v[50:51]
	v_pk_fma_f32 v[54:55], v[48:49], s[10:11], v[54:55] op_sel_hi:[1,0,1]
	v_mov_b32_e32 v36, v31
	v_pk_add_f32 v[64:65], v[60:61], v[54:55]
	v_pk_add_f32 v[54:55], v[60:61], v[54:55] neg_lo:[0,1] neg_hi:[0,1]
	v_mov_b32_e32 v60, v64
	v_mov_b32_e32 v61, v55
	;; [unrolled: 1-line block ×3, first 2 shown]
	ds_write2_b64 v7, v[24:25], v[60:61] offset1:168
	v_pk_add_f32 v[24:25], v[32:33], v[28:29] neg_lo:[0,1] neg_hi:[0,1]
	v_pk_add_f32 v[26:27], v[36:37], v[34:35] neg_lo:[0,1] neg_hi:[0,1]
	v_mov_b32_e32 v28, v62
	v_mov_b32_e32 v29, v57
	;; [unrolled: 1-line block ×6, first 2 shown]
	v_pk_fma_f32 v[28:29], v[26:27], s[18:19], v[28:29] op_sel_hi:[1,0,1] neg_lo:[1,0,1] neg_hi:[1,0,1]
	v_pk_fma_f32 v[30:31], v[24:25], s[16:17], v[30:31] op_sel_hi:[1,0,1] neg_lo:[1,0,1] neg_hi:[1,0,1]
	;; [unrolled: 1-line block ×4, first 2 shown]
	v_pk_add_f32 v[28:29], v[28:29], v[50:51]
	v_pk_fma_f32 v[30:31], v[48:49], s[10:11], v[30:31] op_sel_hi:[1,0,1]
	v_pk_add_f32 v[26:27], v[26:27], v[50:51]
	v_pk_fma_f32 v[24:25], v[48:49], s[10:11], v[24:25] op_sel_hi:[1,0,1]
	v_pk_add_f32 v[32:33], v[28:29], v[30:31]
	v_pk_add_f32 v[28:29], v[28:29], v[30:31] neg_lo:[0,1] neg_hi:[0,1]
	v_pk_add_f32 v[34:35], v[26:27], v[24:25] neg_lo:[0,1] neg_hi:[0,1]
	v_pk_add_f32 v[24:25], v[26:27], v[24:25]
	v_mov_b32_e32 v30, v32
	v_mov_b32_e32 v31, v29
	;; [unrolled: 1-line block ×4, first 2 shown]
	ds_write2_b64 v9, v[30:31], v[26:27] offset0:80 offset1:248
	v_mov_b32_e32 v25, v35
	v_mov_b32_e32 v29, v33
	v_add_u32_e32 v9, 0x1400, v7
	v_mov_b32_e32 v55, v65
	ds_write2_b64 v9, v[24:25], v[28:29] offset0:32 offset1:200
	ds_write_b64 v7, v[54:55] offset:8064
	s_and_saveexec_b64 s[26:27], vcc
	s_cbranch_execz .LBB0_34
; %bb.33:
	v_mul_lo_u16_e32 v7, 43, v5
	v_lshrrev_b16_e32 v7, 9, v7
	v_mul_lo_u16_e32 v7, 12, v7
	v_sub_u16_e32 v37, v5, v7
	v_mov_b32_e32 v7, 6
	v_mul_u32_u24_sdwa v7, v37, v7 dst_sel:DWORD dst_unused:UNUSED_PAD src0_sel:BYTE_0 src1_sel:DWORD
	v_lshlrev_b32_e32 v7, 3, v7
	global_load_dwordx4 v[24:27], v7, s[2:3] offset:88
	global_load_dwordx4 v[28:31], v7, s[2:3] offset:72
	global_load_dwordx4 v[32:35], v7, s[2:3] offset:104
	s_movk_i32 s11, 0x70
	v_mov_b32_e32 v9, v13
	v_mov_b32_e32 v12, v19
	;; [unrolled: 1-line block ×9, first 2 shown]
	v_mul_u32_u24_sdwa v13, v37, s11 dst_sel:DWORD dst_unused:UNUSED_PAD src0_sel:BYTE_0 src1_sel:DWORD
	v_mov_b32_e32 v7, v15
	v_add3_u32 v39, 0, v13, v38
	s_waitcnt vmcnt(2)
	v_mov_b32_e32 v58, v27
	v_mov_b32_e32 v59, v26
	s_waitcnt vmcnt(1)
	v_pk_mul_f32 v[18:19], v[18:19], v[28:29] op_sel_hi:[0,1]
	s_waitcnt vmcnt(0)
	v_pk_mul_f32 v[22:23], v[22:23], v[34:35] op_sel_hi:[0,1]
	v_pk_mul_f32 v[16:17], v[16:17], v[30:31] op_sel_hi:[0,1]
	;; [unrolled: 1-line block ×3, first 2 shown]
	v_pk_mul_f32 v[26:27], v[8:9], v[26:27]
	v_pk_mul_f32 v[60:61], v[10:11], v[24:25]
	v_pk_mul_f32 v[50:51], v[50:51], v[24:25] op_sel:[0,1] op_sel_hi:[1,0]
	v_pk_mul_f32 v[62:63], v[10:11], v[24:25] op_sel:[0,1] op_sel_hi:[1,0]
	v_pk_mul_f32 v[48:49], v[48:49], v[58:59]
	v_pk_mul_f32 v[64:65], v[8:9], v[58:59]
	v_pk_fma_f32 v[66:67], v[36:37], v[34:35], v[22:23] op_sel:[0,0,1] op_sel_hi:[0,1,0] neg_lo:[0,0,1] neg_hi:[0,0,1]
	v_pk_fma_f32 v[22:23], v[36:37], v[34:35], v[22:23] op_sel:[0,0,1] op_sel_hi:[0,1,0]
	v_pk_fma_f32 v[12:13], v[12:13], v[28:29], v[18:19] op_sel:[0,0,1] op_sel_hi:[1,1,0] neg_lo:[0,0,1] neg_hi:[0,0,1]
	v_pk_fma_f32 v[14:15], v[14:15], v[28:29], v[18:19] op_sel:[0,0,1] op_sel_hi:[0,1,0]
	;; [unrolled: 2-line block ×4, first 2 shown]
	v_mov_b32_e32 v62, v63
	v_mov_b32_e32 v14, v65
	;; [unrolled: 1-line block ×10, first 2 shown]
	v_pk_fma_f32 v[10:11], v[10:11], v[24:25], v[62:63] op_sel:[0,1,0] op_sel_hi:[1,0,1] neg_lo:[1,0,0] neg_hi:[1,0,0]
	v_pk_fma_f32 v[8:9], v[8:9], v[58:59], v[14:15] neg_lo:[1,0,0] neg_hi:[1,0,0]
	v_pk_add_f32 v[14:15], v[12:13], v[66:67]
	v_pk_add_f32 v[16:17], v[28:29], v[18:19]
	v_pk_add_f32 v[20:21], v[26:27], v[48:49]
	v_pk_add_f32 v[22:23], v[60:61], v[50:51]
	v_mov_b32_e32 v25, v10
	v_mov_b32_e32 v9, v20
	;; [unrolled: 1-line block ×6, first 2 shown]
	v_pk_add_f32 v[12:13], v[12:13], v[66:67] neg_lo:[0,1] neg_hi:[0,1]
	v_pk_add_f32 v[18:19], v[28:29], v[18:19] neg_lo:[0,1] neg_hi:[0,1]
	v_pk_add_f32 v[34:35], v[22:23], v[20:21]
	v_pk_add_f32 v[8:9], v[8:9], v[10:11] neg_lo:[0,1] neg_hi:[0,1]
	v_pk_add_f32 v[10:11], v[24:25], v[32:33]
	v_mov_b32_e32 v26, v12
	v_mov_b32_e32 v29, v19
	;; [unrolled: 1-line block ×4, first 2 shown]
	v_pk_add_f32 v[32:33], v[10:11], v[34:35]
	v_mov_b32_e32 v10, v15
	v_mov_b32_e32 v35, v23
	;; [unrolled: 1-line block ×3, first 2 shown]
	v_pk_add_f32 v[24:25], v[8:9], v[18:19]
	v_mov_b32_e32 v30, v8
	v_mov_b32_e32 v8, v18
	v_pk_add_f32 v[26:27], v[26:27], v[28:29] neg_lo:[0,1] neg_hi:[0,1]
	v_pk_add_f32 v[28:29], v[10:11], v[34:35] neg_lo:[0,1] neg_hi:[0,1]
	v_mov_b32_e32 v35, v21
	v_mov_b32_e32 v10, v17
	v_pk_add_f32 v[8:9], v[30:31], v[8:9] neg_lo:[0,1] neg_hi:[0,1]
	v_pk_add_f32 v[10:11], v[34:35], v[10:11] neg_lo:[0,1] neg_hi:[0,1]
	v_pk_add_f32 v[6:7], v[6:7], v[32:33]
	v_pk_mul_f32 v[8:9], v[8:9], s[12:13]
	v_pk_mul_f32 v[10:11], v[10:11], s[20:21]
	v_pk_add_f32 v[24:25], v[24:25], v[12:13]
	v_pk_mul_f32 v[30:31], v[26:27], s[14:15]
	v_pk_mul_f32 v[36:37], v[28:29], s[24:25]
	v_pk_fma_f32 v[32:33], v[32:33], s[22:23], v[6:7] op_sel_hi:[1,0,1]
	v_pk_fma_f32 v[26:27], v[26:27], s[14:15], v[8:9]
	v_pk_fma_f32 v[28:29], v[28:29], s[24:25], v[10:11]
	v_pk_fma_f32 v[26:27], v[24:25], s[10:11], v[26:27] op_sel_hi:[1,0,1]
	v_pk_add_f32 v[28:29], v[28:29], v[32:33]
	v_add_u32_e32 v14, 0x2400, v39
	v_pk_add_f32 v[34:35], v[28:29], v[26:27]
	v_pk_add_f32 v[26:27], v[28:29], v[26:27] neg_lo:[0,1] neg_hi:[0,1]
	v_mov_b32_e32 v28, v34
	v_mov_b32_e32 v29, v27
	;; [unrolled: 1-line block ×4, first 2 shown]
	ds_write2_b64 v14, v[6:7], v[28:29] offset0:24 offset1:192
	v_pk_add_f32 v[6:7], v[18:19], v[12:13] neg_lo:[0,1] neg_hi:[0,1]
	v_mov_b32_e32 v12, v30
	v_mov_b32_e32 v13, v9
	v_pk_add_f32 v[14:15], v[22:23], v[20:21] neg_lo:[0,1] neg_hi:[0,1]
	v_mov_b32_e32 v16, v36
	v_mov_b32_e32 v17, v11
	;; [unrolled: 1-line block ×4, first 2 shown]
	v_pk_fma_f32 v[12:13], v[6:7], s[16:17], v[12:13] op_sel_hi:[1,0,1] neg_lo:[1,0,1] neg_hi:[1,0,1]
	v_pk_fma_f32 v[16:17], v[14:15], s[18:19], v[16:17] op_sel_hi:[1,0,1] neg_lo:[1,0,1] neg_hi:[1,0,1]
	;; [unrolled: 1-line block ×4, first 2 shown]
	v_pk_fma_f32 v[12:13], v[24:25], s[10:11], v[12:13] op_sel_hi:[1,0,1]
	v_pk_add_f32 v[16:17], v[16:17], v[32:33]
	v_pk_fma_f32 v[6:7], v[24:25], s[10:11], v[6:7] op_sel_hi:[1,0,1]
	v_pk_add_f32 v[8:9], v[8:9], v[32:33]
	v_pk_add_f32 v[18:19], v[16:17], v[12:13]
	v_pk_add_f32 v[12:13], v[16:17], v[12:13] neg_lo:[0,1] neg_hi:[0,1]
	v_pk_add_f32 v[10:11], v[8:9], v[6:7] neg_lo:[0,1] neg_hi:[0,1]
	v_pk_add_f32 v[6:7], v[8:9], v[6:7]
	v_mov_b32_e32 v16, v18
	v_mov_b32_e32 v17, v13
	;; [unrolled: 1-line block ×4, first 2 shown]
	v_add_u32_e32 v7, 0x2e00, v39
	ds_write2_b64 v7, v[16:17], v[8:9] offset0:40 offset1:208
	v_mov_b32_e32 v7, v11
	v_mov_b32_e32 v13, v19
	v_add_u32_e32 v8, 0x3800, v39
	v_mov_b32_e32 v27, v35
	ds_write2_b64 v8, v[6:7], v[12:13] offset0:56 offset1:224
	ds_write_b64 v39, v[26:27] offset:17472
.LBB0_34:
	s_or_b64 exec, exec, s[26:27]
	s_waitcnt lgkmcnt(0)
	s_barrier
	s_and_saveexec_b64 s[10:11], s[6:7]
	s_cbranch_execz .LBB0_36
; %bb.35:
	s_movk_i32 s6, 0xc4
	v_add_u32_e32 v6, -14, v40
	v_cmp_gt_u32_e32 vcc, s6, v0
	v_mov_b32_e32 v7, 0
	s_load_dwordx2 s[0:1], s[0:1], 0x8
	v_cndmask_b32_e32 v6, v6, v3, vcc
	v_lshl_add_u64 v[8:9], v[6:7], 3, s[2:3]
	global_load_dwordx2 v[12:13], v[8:9], off offset:648
	v_add_u32_e32 v8, 0x54, v6
	v_mul_lo_u32 v8, v4, v8
	v_mov_b32_e32 v68, 3
	v_lshlrev_b32_sdwa v9, v68, v8 dst_sel:DWORD dst_unused:UNUSED_PAD src0_sel:DWORD src1_sel:BYTE_0
	v_mul_lo_u32 v10, v4, v6
	v_lshlrev_b32_sdwa v8, v68, v8 dst_sel:DWORD dst_unused:UNUSED_PAD src0_sel:DWORD src1_sel:BYTE_1
	v_lshlrev_b32_sdwa v11, v68, v10 dst_sel:DWORD dst_unused:UNUSED_PAD src0_sel:DWORD src1_sel:BYTE_0
	v_lshlrev_b32_sdwa v10, v68, v10 dst_sel:DWORD dst_unused:UNUSED_PAD src0_sel:DWORD src1_sel:BYTE_1
	s_waitcnt lgkmcnt(0)
	global_load_dwordx2 v[14:15], v9, s[0:1]
	global_load_dwordx2 v[16:17], v8, s[0:1] offset:2048
	global_load_dwordx2 v[24:25], v11, s[0:1]
	global_load_dwordx2 v[48:49], v10, s[0:1] offset:2048
	s_movk_i32 s6, 0x188
	v_subrev_u32_e32 v8, 28, v40
	v_cmp_gt_u32_e32 vcc, s6, v0
	v_mov_b32_e32 v9, v7
	s_movk_i32 s6, 0x24c
	v_cndmask_b32_e32 v8, v8, v1, vcc
	v_lshl_add_u64 v[10:11], v[8:9], 3, s[2:3]
	global_load_dwordx2 v[50:51], v[10:11], off offset:648
	v_add_u32_e32 v9, 0x54, v8
	v_mul_lo_u32 v11, v4, v8
	v_mul_lo_u32 v9, v4, v9
	v_lshlrev_b32_sdwa v18, v68, v11 dst_sel:DWORD dst_unused:UNUSED_PAD src0_sel:DWORD src1_sel:BYTE_0
	v_lshlrev_b32_sdwa v10, v68, v9 dst_sel:DWORD dst_unused:UNUSED_PAD src0_sel:DWORD src1_sel:BYTE_0
	v_lshlrev_b32_sdwa v9, v68, v9 dst_sel:DWORD dst_unused:UNUSED_PAD src0_sel:DWORD src1_sel:BYTE_1
	v_lshlrev_b32_sdwa v11, v68, v11 dst_sel:DWORD dst_unused:UNUSED_PAD src0_sel:DWORD src1_sel:BYTE_1
	global_load_dwordx2 v[52:53], v18, s[0:1]
	global_load_dwordx2 v[54:55], v11, s[0:1] offset:2048
	global_load_dwordx2 v[56:57], v9, s[0:1] offset:2048
	global_load_dwordx2 v[58:59], v10, s[0:1]
	v_subrev_u32_e32 v10, 42, v40
	v_cmp_gt_u32_e32 vcc, s6, v0
	v_mov_b32_e32 v11, v7
	s_movk_i32 s6, 0x310
	v_cndmask_b32_e32 v10, v10, v42, vcc
	v_lshl_add_u64 v[18:19], v[10:11], 3, s[2:3]
	global_load_dwordx2 v[60:61], v[18:19], off offset:648
	v_add_u32_e32 v19, 0x54, v10
	v_mul_lo_u32 v19, v4, v19
	v_lshlrev_b32_sdwa v20, v68, v19 dst_sel:DWORD dst_unused:UNUSED_PAD src0_sel:DWORD src1_sel:BYTE_0
	v_add_u32_e32 v11, 0x3c00, v43
	v_lshlrev_b32_sdwa v19, v68, v19 dst_sel:DWORD dst_unused:UNUSED_PAD src0_sel:DWORD src1_sel:BYTE_1
	global_load_dwordx2 v[30:31], v20, s[0:1]
	global_load_dwordx2 v[32:33], v19, s[0:1] offset:2048
	ds_read2_b64 v[20:23], v11 offset0:40 offset1:236
	v_mul_lo_u32 v11, v4, v10
	v_mul_u32_u24_e32 v9, 0x70, v3
	v_subrev_u32_e32 v18, 56, v40
	v_cmp_gt_u32_e32 vcc, s6, v0
	v_lshlrev_b32_sdwa v26, v68, v11 dst_sel:DWORD dst_unused:UNUSED_PAD src0_sel:DWORD src1_sel:BYTE_0
	v_add3_u32 v9, 0, v9, v38
	v_cndmask_b32_e32 v18, v18, v41, vcc
	v_lshlrev_b32_sdwa v11, v68, v11 dst_sel:DWORD dst_unused:UNUSED_PAD src0_sel:DWORD src1_sel:BYTE_1
	global_load_dwordx2 v[34:35], v26, s[0:1]
	global_load_dwordx2 v[38:39], v11, s[0:1] offset:2048
	v_add_u32_e32 v11, 0x54, v18
	v_mov_b32_e32 v19, v7
	v_mul_lo_u32 v11, v4, v11
	v_lshl_add_u64 v[26:27], v[18:19], 3, s[2:3]
	v_lshlrev_b32_sdwa v19, v68, v11 dst_sel:DWORD dst_unused:UNUSED_PAD src0_sel:DWORD src1_sel:BYTE_0
	ds_read_b64 v[62:63], v9
	global_load_dwordx2 v[36:37], v[26:27], off offset:648
	v_lshlrev_b32_sdwa v11, v68, v11 dst_sel:DWORD dst_unused:UNUSED_PAD src0_sel:DWORD src1_sel:BYTE_1
	global_load_dwordx2 v[26:27], v19, s[0:1]
	global_load_dwordx2 v[28:29], v11, s[0:1] offset:2048
	v_add_u32_e32 v9, 0xfffff9e0, v9
	v_add_u32_e32 v19, 0x3000, v43
	s_movk_i32 s6, 0x3d4
	v_cmp_gt_u32_e32 vcc, s6, v0
	ds_read_b64 v[46:47], v46
	s_waitcnt vmcnt(17) lgkmcnt(2)
	v_pk_mul_f32 v[64:65], v[22:23], v[12:13] op_sel:[0,1]
	s_nop 0
	v_pk_fma_f32 v[66:67], v[22:23], v[12:13], v[64:65] op_sel:[0,0,1] op_sel_hi:[1,1,0]
	v_pk_fma_f32 v[12:13], v[22:23], v[12:13], v[64:65] op_sel:[0,0,1] op_sel_hi:[1,0,0] neg_lo:[0,0,1] neg_hi:[0,0,1]
	s_waitcnt vmcnt(15)
	v_pk_mul_f32 v[22:23], v[14:15], v[16:17] op_sel:[1,0] op_sel_hi:[0,1]
	v_mov_b32_e32 v12, v17
	v_mov_b32_e32 v67, v13
	v_pk_mul_f32 v[12:13], v[14:15], v[12:13] op_sel:[1,0] op_sel_hi:[0,1]
	v_mov_b32_e32 v22, v23
	s_waitcnt lgkmcnt(1)
	v_pk_add_f32 v[64:65], v[62:63], v[66:67] neg_lo:[0,1] neg_hi:[0,1]
	v_pk_fma_f32 v[66:67], v[14:15], v[16:17], v[12:13] neg_lo:[0,0,1] neg_hi:[0,0,1]
	v_pk_fma_f32 v[12:13], v[14:15], v[16:17], v[22:23] op_sel:[1,0,0] op_sel_hi:[0,1,1]
	v_pk_mul_f32 v[14:15], v[64:65], v[12:13] op_sel_hi:[1,0]
	s_waitcnt vmcnt(13)
	v_mul_f32_e32 v11, v25, v49
	v_pk_fma_f32 v[12:13], v[64:65], v[66:67], v[14:15] op_sel:[0,0,1] op_sel_hi:[1,1,0]
	v_pk_fma_f32 v[14:15], v[64:65], v[66:67], v[14:15] op_sel:[0,0,1] op_sel_hi:[1,0,0] neg_lo:[0,0,1] neg_hi:[0,0,1]
	v_fma_f32 v13, v62, 2.0, -v64
	v_mul_f32_e32 v14, v24, v49
	v_fmac_f32_e32 v14, v25, v48
	v_fma_f32 v16, v63, 2.0, -v65
	v_fma_f32 v11, v24, v48, -v11
	v_mul_f32_e32 v17, v13, v14
	ds_read_b64 v[24:25], v9
	s_waitcnt vmcnt(12)
	v_pk_mul_f32 v[22:23], v[50:51], v[20:21] op_sel:[0,1]
	v_fma_f32 v17, v16, v11, -v17
	v_mul_f32_e32 v16, v16, v14
	v_pk_fma_f32 v[48:49], v[50:51], v[20:21], v[22:23] op_sel:[0,0,1] op_sel_hi:[1,1,0]
	v_pk_fma_f32 v[20:21], v[50:51], v[20:21], v[22:23] op_sel:[0,0,1] op_sel_hi:[1,0,0] neg_lo:[1,0,0] neg_hi:[1,0,0]
	s_waitcnt vmcnt(9)
	v_mov_b32_e32 v14, v57
	v_mov_b32_e32 v49, v21
	s_waitcnt vmcnt(8)
	v_pk_mul_f32 v[20:21], v[58:59], v[14:15] op_sel:[1,0] op_sel_hi:[0,1]
	v_pk_fma_f32 v[22:23], v[58:59], v[56:57], v[20:21] neg_lo:[0,0,1] neg_hi:[0,0,1]
	v_pk_mul_f32 v[20:21], v[58:59], v[56:57] op_sel:[1,0] op_sel_hi:[0,1]
	v_mov_b32_e32 v14, v21
	s_waitcnt lgkmcnt(0)
	v_pk_add_f32 v[48:49], v[24:25], v[48:49] neg_lo:[0,1] neg_hi:[0,1]
	v_pk_fma_f32 v[20:21], v[58:59], v[56:57], v[14:15] op_sel:[1,0,0] op_sel_hi:[0,1,1]
	v_pk_mul_f32 v[50:51], v[48:49], v[20:21] op_sel_hi:[1,0]
	v_fmac_f32_e32 v16, v13, v11
	v_pk_fma_f32 v[20:21], v[48:49], v[22:23], v[50:51] op_sel:[0,0,1] op_sel_hi:[1,1,0]
	v_pk_fma_f32 v[22:23], v[48:49], v[22:23], v[50:51] op_sel:[0,0,1] op_sel_hi:[1,0,0] neg_lo:[0,0,1] neg_hi:[0,0,1]
	v_fma_f32 v9, v25, 2.0, -v49
	v_fma_f32 v13, v24, 2.0, -v48
	ds_read2_b64 v[48:51], v19 offset0:32 offset1:228
	v_mul_f32_e32 v11, v53, v55
	v_mul_f32_e32 v14, v52, v55
	v_fma_f32 v11, v52, v54, -v11
	v_fmac_f32_e32 v14, v53, v54
	s_waitcnt vmcnt(7) lgkmcnt(0)
	v_pk_mul_f32 v[52:53], v[60:61], v[50:51] op_sel:[0,1]
	v_mul_f32_e32 v19, v13, v14
	v_mul_f32_e32 v24, v9, v14
	v_pk_fma_f32 v[54:55], v[60:61], v[50:51], v[52:53] op_sel:[0,0,1] op_sel_hi:[1,1,0]
	v_pk_fma_f32 v[50:51], v[60:61], v[50:51], v[52:53] op_sel:[0,0,1] op_sel_hi:[1,0,0] neg_lo:[1,0,0] neg_hi:[1,0,0]
	s_waitcnt vmcnt(5)
	v_mov_b32_e32 v14, v33
	v_pk_mul_f32 v[58:59], v[30:31], v[32:33] op_sel:[1,0] op_sel_hi:[0,1]
	v_mov_b32_e32 v55, v51
	v_pk_mul_f32 v[56:57], v[30:31], v[14:15] op_sel:[1,0] op_sel_hi:[0,1]
	v_mov_b32_e32 v14, v59
	v_fma_f32 v25, v9, v11, -v19
	v_pk_add_f32 v[54:55], v[46:47], v[54:55] neg_lo:[0,1] neg_hi:[0,1]
	v_pk_fma_f32 v[56:57], v[30:31], v[32:33], v[56:57] neg_lo:[0,0,1] neg_hi:[0,0,1]
	v_pk_fma_f32 v[30:31], v[30:31], v[32:33], v[14:15] op_sel:[1,0,0] op_sel_hi:[0,1,1]
	v_mul_lo_u32 v19, v4, v18
	v_pk_mul_f32 v[30:31], v[54:55], v[30:31] op_sel_hi:[1,0]
	s_waitcnt vmcnt(3)
	v_mul_f32_e32 v14, v35, v39
	v_lshlrev_b32_sdwa v21, v68, v19 dst_sel:DWORD dst_unused:UNUSED_PAD src0_sel:DWORD src1_sel:BYTE_0
	v_add_u32_e32 v22, 0xffffffba, v40
	ds_read_b64 v[50:51], v45
	ds_read_b64 v[44:45], v44
	;; [unrolled: 1-line block ×3, first 2 shown]
	v_pk_fma_f32 v[32:33], v[54:55], v[56:57], v[30:31] op_sel:[0,0,1] op_sel_hi:[1,1,0]
	v_pk_fma_f32 v[30:31], v[54:55], v[56:57], v[30:31] op_sel:[0,0,1] op_sel_hi:[1,0,0] neg_lo:[0,0,1] neg_hi:[0,0,1]
	v_fma_f32 v14, v34, v38, -v14
	v_lshlrev_b32_sdwa v19, v68, v19 dst_sel:DWORD dst_unused:UNUSED_PAD src0_sel:DWORD src1_sel:BYTE_1
	global_load_dwordx2 v[56:57], v21, s[0:1]
	global_load_dwordx2 v[58:59], v19, s[0:1] offset:2048
	v_mul_f32_e32 v21, v34, v39
	v_cndmask_b32_e32 v34, v22, v5, vcc
	v_add_u32_e32 v0, 0x54, v34
	v_mul_lo_u32 v0, v4, v0
	v_fma_f32 v9, v47, 2.0, -v55
	v_fma_f32 v19, v46, 2.0, -v54
	v_lshlrev_b32_sdwa v22, v68, v0 dst_sel:DWORD dst_unused:UNUSED_PAD src0_sel:DWORD src1_sel:BYTE_0
	v_lshlrev_b32_sdwa v30, v68, v0 dst_sel:DWORD dst_unused:UNUSED_PAD src0_sel:DWORD src1_sel:BYTE_1
	s_waitcnt vmcnt(4)
	v_pk_mul_f32 v[46:47], v[36:37], v[48:49] op_sel:[0,1]
	s_waitcnt vmcnt(2)
	v_mov_b32_e32 v0, v29
	v_fmac_f32_e32 v21, v35, v38
	v_mov_b32_e32 v35, v7
	v_pk_fma_f32 v[54:55], v[36:37], v[48:49], v[46:47] op_sel:[0,0,1] op_sel_hi:[1,1,0]
	v_pk_fma_f32 v[36:37], v[36:37], v[48:49], v[46:47] op_sel:[0,0,1] op_sel_hi:[1,0,0] neg_lo:[1,0,0] neg_hi:[1,0,0]
	v_pk_mul_f32 v[46:47], v[26:27], v[0:1] op_sel:[1,0] op_sel_hi:[0,1]
	v_mul_lo_u32 v0, v4, v34
	v_lshl_add_u64 v[38:39], v[34:35], 3, s[2:3]
	v_lshlrev_b32_sdwa v33, v68, v0 dst_sel:DWORD dst_unused:UNUSED_PAD src0_sel:DWORD src1_sel:BYTE_0
	v_lshlrev_b32_sdwa v0, v68, v0 dst_sel:DWORD dst_unused:UNUSED_PAD src0_sel:DWORD src1_sel:BYTE_1
	v_pk_mul_f32 v[66:67], v[26:27], v[28:29] op_sel:[1,0] op_sel_hi:[0,1]
	global_load_dwordx2 v[38:39], v[38:39], off offset:648
	s_nop 0
	global_load_dwordx2 v[48:49], v22, s[0:1]
	global_load_dwordx2 v[60:61], v30, s[0:1] offset:2048
	global_load_dwordx2 v[62:63], v33, s[0:1]
	global_load_dwordx2 v[64:65], v0, s[0:1] offset:2048
	v_mov_b32_e32 v0, v67
	v_add_u32_e32 v22, 0x54, v40
	v_pk_fma_f32 v[46:47], v[26:27], v[28:29], v[46:47] neg_lo:[0,0,1] neg_hi:[0,0,1]
	v_pk_fma_f32 v[26:27], v[26:27], v[28:29], v[0:1] op_sel:[1,0,0] op_sel_hi:[0,1,1]
	v_mul_lo_u32 v0, v4, v22
	v_fmac_f32_e32 v24, v13, v11
	v_mul_f32_e32 v11, v19, v21
	v_mul_lo_u32 v4, v4, v40
	v_lshlrev_b32_sdwa v28, v68, v0 dst_sel:DWORD dst_unused:UNUSED_PAD src0_sel:DWORD src1_sel:BYTE_0
	v_lshlrev_b32_sdwa v0, v68, v0 dst_sel:DWORD dst_unused:UNUSED_PAD src0_sel:DWORD src1_sel:BYTE_1
	v_fma_f32 v67, v9, v14, -v11
	v_mul_f32_e32 v66, v9, v21
	v_lshlrev_b32_sdwa v9, v68, v4 dst_sel:DWORD dst_unused:UNUSED_PAD src0_sel:DWORD src1_sel:BYTE_0
	v_lshlrev_b32_sdwa v4, v68, v4 dst_sel:DWORD dst_unused:UNUSED_PAD src0_sel:DWORD src1_sel:BYTE_1
	global_load_dwordx2 v[68:69], v9, s[0:1]
	global_load_dwordx2 v[70:71], v4, s[0:1] offset:2048
	global_load_dwordx2 v[72:73], v0, s[0:1] offset:2048
	global_load_dwordx2 v[74:75], v28, s[0:1]
	v_lshlrev_b32_e32 v0, 3, v40
	global_load_dwordx2 v[76:77], v0, s[2:3] offset:648
	v_mov_b32_e32 v55, v37
	s_waitcnt lgkmcnt(1)
	v_pk_add_f32 v[28:29], v[44:45], v[54:55] neg_lo:[0,1] neg_hi:[0,1]
	v_add_u32_e32 v13, 0x2400, v43
	v_pk_mul_f32 v[26:27], v[28:29], v[26:27] op_sel_hi:[1,0]
	v_fma_f32 v0, v45, 2.0, -v29
	v_pk_fma_f32 v[36:37], v[28:29], v[46:47], v[26:27] op_sel:[0,0,1] op_sel_hi:[1,1,0]
	v_pk_fma_f32 v[46:47], v[28:29], v[46:47], v[26:27] op_sel:[0,0,1] op_sel_hi:[1,0,0] neg_lo:[0,0,1] neg_hi:[0,0,1]
	v_fma_f32 v9, v44, 2.0, -v28
	ds_read2_b64 v[26:29], v13 offset0:24 offset1:220
	v_mov_b32_e32 v37, v47
	v_fmac_f32_e32 v66, v19, v14
	v_mov_b32_e32 v33, v31
	v_mov_b32_e32 v21, v23
	s_waitcnt vmcnt(10)
	v_mul_f32_e32 v11, v56, v59
	v_mul_f32_e32 v4, v57, v59
	v_fmac_f32_e32 v11, v57, v58
	v_fma_f32 v4, v56, v58, -v4
	v_mul_f32_e32 v13, v9, v11
	v_fma_f32 v45, v0, v4, -v13
	v_mul_f32_e32 v44, v0, v11
	v_fmac_f32_e32 v44, v9, v4
	s_waitcnt vmcnt(7)
	v_mov_b32_e32 v0, v61
	s_waitcnt lgkmcnt(0)
	v_pk_mul_f32 v[54:55], v[38:39], v[28:29] op_sel:[0,1]
	s_waitcnt vmcnt(5)
	v_mul_f32_e32 v11, v62, v65
	v_pk_fma_f32 v[56:57], v[38:39], v[28:29], v[54:55] op_sel:[0,0,1] op_sel_hi:[1,1,0]
	v_pk_fma_f32 v[28:29], v[38:39], v[28:29], v[54:55] op_sel:[0,0,1] op_sel_hi:[1,0,0] neg_lo:[1,0,0] neg_hi:[1,0,0]
	v_pk_mul_f32 v[54:55], v[48:49], v[60:61] op_sel:[1,0] op_sel_hi:[0,1]
	v_mov_b32_e32 v57, v29
	v_pk_add_f32 v[28:29], v[50:51], v[56:57] neg_lo:[0,1] neg_hi:[0,1]
	v_pk_mul_f32 v[38:39], v[48:49], v[0:1] op_sel:[1,0] op_sel_hi:[0,1]
	v_mov_b32_e32 v0, v55
	v_pk_fma_f32 v[38:39], v[48:49], v[60:61], v[38:39] neg_lo:[0,0,1] neg_hi:[0,0,1]
	v_pk_fma_f32 v[48:49], v[48:49], v[60:61], v[0:1] op_sel:[1,0,0] op_sel_hi:[0,1,1]
	v_mul_f32_e32 v4, v63, v65
	v_fma_f32 v9, v50, 2.0, -v28
	v_fmac_f32_e32 v11, v63, v64
	v_pk_mul_f32 v[48:49], v[28:29], v[48:49] op_sel_hi:[1,0]
	v_fma_f32 v0, v51, 2.0, -v29
	v_fma_f32 v4, v62, v64, -v4
	v_mul_f32_e32 v13, v9, v11
	s_waitcnt vmcnt(0)
	v_pk_mul_f32 v[60:61], v[76:77], v[26:27] op_sel:[0,1]
	v_pk_fma_f32 v[54:55], v[28:29], v[38:39], v[48:49] op_sel:[0,0,1] op_sel_hi:[1,1,0]
	v_pk_fma_f32 v[62:63], v[76:77], v[26:27], v[60:61] op_sel:[0,0,1] op_sel_hi:[1,1,0]
	v_pk_fma_f32 v[26:27], v[76:77], v[26:27], v[60:61] op_sel:[0,0,1] op_sel_hi:[1,0,0] neg_lo:[1,0,0] neg_hi:[1,0,0]
	v_pk_fma_f32 v[38:39], v[28:29], v[38:39], v[48:49] op_sel:[0,0,1] op_sel_hi:[1,0,0] neg_lo:[0,0,1] neg_hi:[0,0,1]
	v_fma_f32 v29, v0, v4, -v13
	v_mul_f32_e32 v28, v0, v11
	v_mov_b32_e32 v0, v73
	v_pk_mul_f32 v[50:51], v[74:75], v[72:73] op_sel:[1,0] op_sel_hi:[0,1]
	v_mov_b32_e32 v63, v27
	v_fmac_f32_e32 v28, v9, v4
	v_pk_mul_f32 v[48:49], v[74:75], v[0:1] op_sel:[1,0] op_sel_hi:[0,1]
	v_mov_b32_e32 v0, v51
	v_mul_f32_e32 v4, v68, v71
	v_pk_add_f32 v[26:27], v[52:53], v[62:63] neg_lo:[0,1] neg_hi:[0,1]
	v_pk_fma_f32 v[50:51], v[74:75], v[72:73], v[0:1] op_sel:[1,0,0] op_sel_hi:[0,1,1]
	v_add_u32_e32 v0, s9, v2
	v_mul_f32_e32 v2, v69, v71
	v_fmac_f32_e32 v4, v70, v69
	v_fma_f32 v11, v52, 2.0, -v26
	v_pk_fma_f32 v[48:49], v[74:75], v[72:73], v[48:49] neg_lo:[0,0,1] neg_hi:[0,0,1]
	v_fma_f32 v2, v68, v70, -v2
	v_pk_mul_f32 v[50:51], v[26:27], v[50:51] op_sel_hi:[1,0]
	v_fma_f32 v9, v53, 2.0, -v27
	v_mul_f32_e32 v13, v4, v11
	v_pk_fma_f32 v[60:61], v[26:27], v[48:49], v[50:51] op_sel:[0,0,1] op_sel_hi:[1,1,0]
	v_pk_fma_f32 v[48:49], v[26:27], v[48:49], v[50:51] op_sel:[0,0,1] op_sel_hi:[1,0,0] neg_lo:[0,0,1] neg_hi:[0,0,1]
	v_fma_f32 v27, v9, v2, -v13
	v_mul_f32_e32 v26, v2, v11
	v_sub_u32_e32 v2, v5, v34
	v_add_u32_e32 v2, v2, v5
	v_mad_u64_u32 v[56:57], s[0:1], s8, v40, v[0:1]
	v_mad_u64_u32 v[58:59], s[0:1], s8, v22, v[0:1]
	v_fmac_f32_e32 v26, v9, v4
	v_mad_u64_u32 v[4:5], s[0:1], s8, v2, v[0:1]
	v_mov_b32_e32 v57, v7
	v_mov_b32_e32 v59, v7
	;; [unrolled: 1-line block ×3, first 2 shown]
	v_lshl_add_u64 v[56:57], v[56:57], 3, s[4:5]
	v_lshl_add_u64 v[58:59], v[58:59], 3, s[4:5]
	v_mov_b32_e32 v61, v49
	v_lshl_add_u64 v[4:5], v[4:5], 3, s[4:5]
	v_add_u32_e32 v2, 0x54, v2
	global_store_dwordx2 v[56:57], v[26:27], off
	global_store_dwordx2 v[58:59], v[60:61], off
	;; [unrolled: 1-line block ×3, first 2 shown]
	v_mad_u64_u32 v[4:5], s[0:1], s8, v2, v[0:1]
	v_mov_b32_e32 v5, v7
	v_sub_u32_e32 v2, v41, v18
	v_lshl_add_u64 v[4:5], v[4:5], 3, s[4:5]
	v_mov_b32_e32 v55, v39
	v_add_u32_e32 v2, v2, v41
	global_store_dwordx2 v[4:5], v[54:55], off
	v_mad_u64_u32 v[4:5], s[0:1], s8, v2, v[0:1]
	v_mov_b32_e32 v5, v7
	v_lshl_add_u64 v[4:5], v[4:5], 3, s[4:5]
	v_add_u32_e32 v2, 0x54, v2
	global_store_dwordx2 v[4:5], v[44:45], off
	v_mad_u64_u32 v[4:5], s[0:1], s8, v2, v[0:1]
	v_mov_b32_e32 v5, v7
	v_sub_u32_e32 v2, v42, v10
	v_lshl_add_u64 v[4:5], v[4:5], 3, s[4:5]
	v_add_u32_e32 v2, v2, v42
	global_store_dwordx2 v[4:5], v[36:37], off
	v_mad_u64_u32 v[4:5], s[0:1], s8, v2, v[0:1]
	v_mov_b32_e32 v5, v7
	v_lshl_add_u64 v[4:5], v[4:5], 3, s[4:5]
	v_add_u32_e32 v2, 0x54, v2
	global_store_dwordx2 v[4:5], v[66:67], off
	v_mad_u64_u32 v[4:5], s[0:1], s8, v2, v[0:1]
	v_mov_b32_e32 v5, v7
	v_sub_u32_e32 v2, v1, v8
	v_lshl_add_u64 v[4:5], v[4:5], 3, s[4:5]
	v_add_u32_e32 v1, v2, v1
	global_store_dwordx2 v[4:5], v[32:33], off
	v_mad_u64_u32 v[4:5], s[0:1], s8, v1, v[0:1]
	v_mov_b32_e32 v5, v7
	v_lshl_add_u64 v[4:5], v[4:5], 3, s[4:5]
	v_add_u32_e32 v1, 0x54, v1
	global_store_dwordx2 v[4:5], v[24:25], off
	v_mad_u64_u32 v[4:5], s[0:1], s8, v1, v[0:1]
	v_sub_u32_e32 v1, v3, v6
	v_add_u32_e32 v1, v1, v3
	v_mad_u64_u32 v[2:3], s[0:1], s8, v1, v[0:1]
	v_add_u32_e32 v1, 0x54, v1
	v_mad_u64_u32 v[0:1], s[0:1], s8, v1, v[0:1]
	v_mov_b32_e32 v5, v7
	v_mov_b32_e32 v3, v7
	;; [unrolled: 1-line block ×3, first 2 shown]
	v_lshl_add_u64 v[4:5], v[4:5], 3, s[4:5]
	v_lshl_add_u64 v[2:3], v[2:3], 3, s[4:5]
	;; [unrolled: 1-line block ×3, first 2 shown]
	v_mov_b32_e32 v13, v15
	global_store_dwordx2 v[4:5], v[20:21], off
	global_store_dwordx2 v[2:3], v[16:17], off
	;; [unrolled: 1-line block ×3, first 2 shown]
.LBB0_36:
	s_endpgm
	.section	.rodata,"a",@progbits
	.p2align	6, 0x0
	.amdhsa_kernel fft_rtc_back_len168_factors_3_4_7_2_wgs_196_tpt_14_dim3_sp_ip_CI_sbcc_twdbase8_2step_dirReg_intrinsicReadWrite
		.amdhsa_group_segment_fixed_size 0
		.amdhsa_private_segment_fixed_size 0
		.amdhsa_kernarg_size 88
		.amdhsa_user_sgpr_count 2
		.amdhsa_user_sgpr_dispatch_ptr 0
		.amdhsa_user_sgpr_queue_ptr 0
		.amdhsa_user_sgpr_kernarg_segment_ptr 1
		.amdhsa_user_sgpr_dispatch_id 0
		.amdhsa_user_sgpr_kernarg_preload_length 0
		.amdhsa_user_sgpr_kernarg_preload_offset 0
		.amdhsa_user_sgpr_private_segment_size 0
		.amdhsa_uses_dynamic_stack 0
		.amdhsa_enable_private_segment 0
		.amdhsa_system_sgpr_workgroup_id_x 1
		.amdhsa_system_sgpr_workgroup_id_y 0
		.amdhsa_system_sgpr_workgroup_id_z 0
		.amdhsa_system_sgpr_workgroup_info 0
		.amdhsa_system_vgpr_workitem_id 0
		.amdhsa_next_free_vgpr 86
		.amdhsa_next_free_sgpr 28
		.amdhsa_accum_offset 88
		.amdhsa_reserve_vcc 1
		.amdhsa_float_round_mode_32 0
		.amdhsa_float_round_mode_16_64 0
		.amdhsa_float_denorm_mode_32 3
		.amdhsa_float_denorm_mode_16_64 3
		.amdhsa_dx10_clamp 1
		.amdhsa_ieee_mode 1
		.amdhsa_fp16_overflow 0
		.amdhsa_tg_split 0
		.amdhsa_exception_fp_ieee_invalid_op 0
		.amdhsa_exception_fp_denorm_src 0
		.amdhsa_exception_fp_ieee_div_zero 0
		.amdhsa_exception_fp_ieee_overflow 0
		.amdhsa_exception_fp_ieee_underflow 0
		.amdhsa_exception_fp_ieee_inexact 0
		.amdhsa_exception_int_div_zero 0
	.end_amdhsa_kernel
	.text
.Lfunc_end0:
	.size	fft_rtc_back_len168_factors_3_4_7_2_wgs_196_tpt_14_dim3_sp_ip_CI_sbcc_twdbase8_2step_dirReg_intrinsicReadWrite, .Lfunc_end0-fft_rtc_back_len168_factors_3_4_7_2_wgs_196_tpt_14_dim3_sp_ip_CI_sbcc_twdbase8_2step_dirReg_intrinsicReadWrite
                                        ; -- End function
	.section	.AMDGPU.csdata,"",@progbits
; Kernel info:
; codeLenInByte = 7412
; NumSgprs: 34
; NumVgprs: 86
; NumAgprs: 0
; TotalNumVgprs: 86
; ScratchSize: 0
; MemoryBound: 0
; FloatMode: 240
; IeeeMode: 1
; LDSByteSize: 0 bytes/workgroup (compile time only)
; SGPRBlocks: 4
; VGPRBlocks: 10
; NumSGPRsForWavesPerEU: 34
; NumVGPRsForWavesPerEU: 86
; AccumOffset: 88
; Occupancy: 5
; WaveLimiterHint : 1
; COMPUTE_PGM_RSRC2:SCRATCH_EN: 0
; COMPUTE_PGM_RSRC2:USER_SGPR: 2
; COMPUTE_PGM_RSRC2:TRAP_HANDLER: 0
; COMPUTE_PGM_RSRC2:TGID_X_EN: 1
; COMPUTE_PGM_RSRC2:TGID_Y_EN: 0
; COMPUTE_PGM_RSRC2:TGID_Z_EN: 0
; COMPUTE_PGM_RSRC2:TIDIG_COMP_CNT: 0
; COMPUTE_PGM_RSRC3_GFX90A:ACCUM_OFFSET: 21
; COMPUTE_PGM_RSRC3_GFX90A:TG_SPLIT: 0
	.text
	.p2alignl 6, 3212836864
	.fill 256, 4, 3212836864
	.type	__hip_cuid_a0f138e2d03b65e7,@object ; @__hip_cuid_a0f138e2d03b65e7
	.section	.bss,"aw",@nobits
	.globl	__hip_cuid_a0f138e2d03b65e7
__hip_cuid_a0f138e2d03b65e7:
	.byte	0                               ; 0x0
	.size	__hip_cuid_a0f138e2d03b65e7, 1

	.ident	"AMD clang version 19.0.0git (https://github.com/RadeonOpenCompute/llvm-project roc-6.4.0 25133 c7fe45cf4b819c5991fe208aaa96edf142730f1d)"
	.section	".note.GNU-stack","",@progbits
	.addrsig
	.addrsig_sym __hip_cuid_a0f138e2d03b65e7
	.amdgpu_metadata
---
amdhsa.kernels:
  - .agpr_count:     0
    .args:
      - .actual_access:  read_only
        .address_space:  global
        .offset:         0
        .size:           8
        .value_kind:     global_buffer
      - .address_space:  global
        .offset:         8
        .size:           8
        .value_kind:     global_buffer
      - .actual_access:  read_only
        .address_space:  global
        .offset:         16
        .size:           8
        .value_kind:     global_buffer
      - .actual_access:  read_only
        .address_space:  global
        .offset:         24
        .size:           8
        .value_kind:     global_buffer
      - .offset:         32
        .size:           8
        .value_kind:     by_value
      - .actual_access:  read_only
        .address_space:  global
        .offset:         40
        .size:           8
        .value_kind:     global_buffer
      - .actual_access:  read_only
        .address_space:  global
        .offset:         48
        .size:           8
        .value_kind:     global_buffer
      - .offset:         56
        .size:           4
        .value_kind:     by_value
      - .actual_access:  read_only
        .address_space:  global
        .offset:         64
        .size:           8
        .value_kind:     global_buffer
      - .actual_access:  read_only
        .address_space:  global
        .offset:         72
        .size:           8
        .value_kind:     global_buffer
      - .address_space:  global
        .offset:         80
        .size:           8
        .value_kind:     global_buffer
    .group_segment_fixed_size: 0
    .kernarg_segment_align: 8
    .kernarg_segment_size: 88
    .language:       OpenCL C
    .language_version:
      - 2
      - 0
    .max_flat_workgroup_size: 196
    .name:           fft_rtc_back_len168_factors_3_4_7_2_wgs_196_tpt_14_dim3_sp_ip_CI_sbcc_twdbase8_2step_dirReg_intrinsicReadWrite
    .private_segment_fixed_size: 0
    .sgpr_count:     34
    .sgpr_spill_count: 0
    .symbol:         fft_rtc_back_len168_factors_3_4_7_2_wgs_196_tpt_14_dim3_sp_ip_CI_sbcc_twdbase8_2step_dirReg_intrinsicReadWrite.kd
    .uniform_work_group_size: 1
    .uses_dynamic_stack: false
    .vgpr_count:     86
    .vgpr_spill_count: 0
    .wavefront_size: 64
amdhsa.target:   amdgcn-amd-amdhsa--gfx950
amdhsa.version:
  - 1
  - 2
...

	.end_amdgpu_metadata
